;; amdgpu-corpus repo=ROCm/rocFFT kind=compiled arch=gfx906 opt=O3
	.text
	.amdgcn_target "amdgcn-amd-amdhsa--gfx906"
	.amdhsa_code_object_version 6
	.protected	fft_rtc_back_len75_factors_5_3_5_wgs_195_tpt_15_dim1_dp_ip_CI_unitstride_sbrr_dirReg ; -- Begin function fft_rtc_back_len75_factors_5_3_5_wgs_195_tpt_15_dim1_dp_ip_CI_unitstride_sbrr_dirReg
	.globl	fft_rtc_back_len75_factors_5_3_5_wgs_195_tpt_15_dim1_dp_ip_CI_unitstride_sbrr_dirReg
	.p2align	8
	.type	fft_rtc_back_len75_factors_5_3_5_wgs_195_tpt_15_dim1_dp_ip_CI_unitstride_sbrr_dirReg,@function
fft_rtc_back_len75_factors_5_3_5_wgs_195_tpt_15_dim1_dp_ip_CI_unitstride_sbrr_dirReg: ; @fft_rtc_back_len75_factors_5_3_5_wgs_195_tpt_15_dim1_dp_ip_CI_unitstride_sbrr_dirReg
; %bb.0:
	s_load_dwordx4 s[12:15], s[4:5], 0x10
	v_mul_u32_u24_e32 v1, 0x1112, v0
	v_lshrrev_b32_e32 v1, 16, v1
	v_mad_u64_u32 v[20:21], s[2:3], s6, 13, v[1:2]
	s_load_dwordx2 s[8:9], s[4:5], 0x0
	s_waitcnt lgkmcnt(0)
	s_load_dwordx2 s[0:1], s[12:13], 0x8
	v_mov_b32_e32 v21, 0
	v_cmp_gt_u64_e32 vcc, s[14:15], v[20:21]
	v_mul_lo_u16_e32 v1, 15, v1
                                        ; kill: def $vgpr4 killed $sgpr0 killed $exec
	s_waitcnt lgkmcnt(0)
	v_mad_u64_u32 v[2:3], s[2:3], s0, v20, 0
	s_load_dwordx2 s[2:3], s[4:5], 0x48
	v_sub_u16_e32 v28, v0, v1
	v_mad_u64_u32 v[3:4], s[0:1], s1, v20, v[3:4]
	v_mov_b32_e32 v26, 0
	v_mov_b32_e32 v27, 0
	v_lshlrev_b64 v[24:25], 4, v[2:3]
                                        ; kill: def $vgpr0_vgpr1 killed $sgpr0_sgpr1 killed $exec
                                        ; implicit-def: $vgpr18_vgpr19
                                        ; implicit-def: $vgpr10_vgpr11
                                        ; implicit-def: $vgpr14_vgpr15
                                        ; implicit-def: $vgpr6_vgpr7
                                        ; implicit-def: $vgpr2_vgpr3
	s_and_saveexec_b64 s[4:5], vcc
	s_cbranch_execz .LBB0_2
; %bb.1:
	s_waitcnt lgkmcnt(0)
	v_mov_b32_e32 v0, s3
	v_add_co_u32_e64 v1, s[0:1], s2, v24
	v_addc_co_u32_e64 v0, s[0:1], v0, v25, s[0:1]
	v_lshlrev_b32_e32 v2, 4, v28
	v_add_co_u32_e64 v21, s[0:1], v1, v2
	v_addc_co_u32_e64 v22, s[0:1], 0, v0, s[0:1]
	global_load_dwordx4 v[0:3], v[21:22], off
	global_load_dwordx4 v[4:7], v[21:22], off offset:240
	global_load_dwordx4 v[12:15], v[21:22], off offset:480
	;; [unrolled: 1-line block ×4, first 2 shown]
	v_mov_b32_e32 v26, v28
	v_mov_b32_e32 v27, v29
.LBB0_2:
	s_or_b64 exec, exec, s[4:5]
	s_waitcnt vmcnt(3)
	v_add_f64 v[21:22], v[4:5], v[0:1]
	v_add_f64 v[29:30], v[6:7], v[2:3]
	s_waitcnt vmcnt(1)
	v_add_f64 v[31:32], v[8:9], v[12:13]
	v_add_f64 v[35:36], v[4:5], -v[12:13]
	v_add_f64 v[37:38], v[12:13], -v[4:5]
	v_add_f64 v[39:40], v[10:11], v[14:15]
	v_add_f64 v[41:42], v[12:13], -v[8:9]
	v_add_f64 v[43:44], v[14:15], -v[6:7]
	v_add_f64 v[21:22], v[12:13], v[21:22]
	v_add_f64 v[29:30], v[14:15], v[29:30]
	v_add_f64 v[12:13], v[6:7], -v[14:15]
	s_waitcnt vmcnt(0)
	v_add_f64 v[45:46], v[6:7], -v[18:19]
	v_add_f64 v[6:7], v[18:19], v[6:7]
	v_fma_f64 v[31:32], v[31:32], -0.5, v[0:1]
	s_mov_b32 s0, 0x134454ff
	s_mov_b32 s1, 0xbfee6f0e
	v_add_f64 v[21:22], v[8:9], v[21:22]
	v_add_f64 v[33:34], v[14:15], -v[10:11]
	v_add_f64 v[14:15], v[16:17], v[4:5]
	v_add_f64 v[4:5], v[4:5], -v[16:17]
	;; [unrolled: 2-line block ×3, first 2 shown]
	v_add_f64 v[49:50], v[8:9], -v[16:17]
	s_mov_b32 s6, 0x4755a5e
	v_add_f64 v[8:9], v[16:17], v[21:22]
	v_fma_f64 v[16:17], v[39:40], -0.5, v[2:3]
	v_fma_f64 v[2:3], v[6:7], -0.5, v[2:3]
	v_fma_f64 v[6:7], v[45:46], s[0:1], v[31:32]
	s_mov_b32 s7, 0xbfe2cf23
	v_add_f64 v[51:52], v[18:19], -v[10:11]
	v_add_f64 v[53:54], v[10:11], -v[18:19]
	v_add_f64 v[10:11], v[18:19], v[29:30]
	v_fma_f64 v[0:1], v[14:15], -0.5, v[0:1]
	v_add_f64 v[18:19], v[47:48], v[35:36]
	s_mov_b32 s5, 0x3fee6f0e
	v_fma_f64 v[6:7], v[33:34], s[6:7], v[6:7]
	s_mov_b32 s4, s0
	v_fma_f64 v[29:30], v[45:46], s[4:5], v[31:32]
	v_fma_f64 v[14:15], v[4:5], s[4:5], v[16:17]
	s_mov_b32 s12, 0x372fe950
	v_fma_f64 v[16:17], v[4:5], s[0:1], v[16:17]
	s_mov_b32 s13, 0x3fd3c6ef
	v_add_f64 v[21:22], v[51:52], v[12:13]
	v_fma_f64 v[12:13], v[18:19], s[12:13], v[6:7]
	v_fma_f64 v[6:7], v[33:34], s[4:5], v[0:1]
	;; [unrolled: 1-line block ×5, first 2 shown]
	s_mov_b32 s11, 0x3fe2cf23
	s_mov_b32 s10, s6
	v_fma_f64 v[29:30], v[33:34], s[10:11], v[29:30]
	v_fma_f64 v[14:15], v[41:42], s[10:11], v[14:15]
	;; [unrolled: 1-line block ×3, first 2 shown]
	v_add_f64 v[33:34], v[49:50], v[37:38]
	v_fma_f64 v[35:36], v[45:46], s[6:7], v[6:7]
	v_add_f64 v[37:38], v[53:54], v[43:44]
	v_fma_f64 v[31:32], v[4:5], s[10:11], v[31:32]
	s_mov_b32 s0, 0x4ec4ec4f
	v_fma_f64 v[0:1], v[45:46], s[10:11], v[0:1]
	v_fma_f64 v[2:3], v[4:5], s[6:7], v[2:3]
	v_mul_hi_u32 v23, v20, s0
	v_fma_f64 v[4:5], v[18:19], s[12:13], v[29:30]
	v_fma_f64 v[14:15], v[21:22], s[12:13], v[14:15]
	;; [unrolled: 1-line block ×3, first 2 shown]
	v_lshrrev_b32_e32 v18, 2, v23
	v_mul_lo_u32 v21, v18, 13
	v_fma_f64 v[16:17], v[33:34], s[12:13], v[35:36]
	v_fma_f64 v[18:19], v[37:38], s[12:13], v[31:32]
	;; [unrolled: 1-line block ×4, first 2 shown]
	v_sub_u32_e32 v20, v20, v21
	v_mul_u32_u24_e32 v31, 0x4b, v20
	v_lshl_add_u32 v20, v31, 4, 0
	s_movk_i32 s0, 0x50
	v_mad_u32_u24 v21, v28, s0, v20
	v_lshl_add_u32 v27, v28, 4, v20
	v_lshlrev_b32_e32 v30, 6, v28
	ds_write_b128 v21, v[8:11]
	ds_write_b128 v21, v[12:15] offset:16
	ds_write_b128 v21, v[16:19] offset:32
	ds_write_b128 v21, v[0:3] offset:48
	ds_write_b128 v21, v[4:7] offset:64
	s_waitcnt lgkmcnt(0)
	s_barrier
	v_sub_u32_e32 v29, v21, v30
	ds_read_b128 v[12:15], v27
	ds_read_b128 v[16:19], v29 offset:400
	ds_read_b128 v[20:23], v29 offset:800
	v_cmp_gt_u16_e64 s[0:1], 10, v28
                                        ; kill: def $vgpr8_vgpr9 killed $sgpr0_sgpr1 killed $exec
                                        ; implicit-def: $vgpr10_vgpr11
	s_and_saveexec_b64 s[4:5], s[0:1]
	s_cbranch_execz .LBB0_4
; %bb.3:
	ds_read_b128 v[0:3], v29 offset:240
	ds_read_b128 v[4:7], v29 offset:640
	;; [unrolled: 1-line block ×3, first 2 shown]
.LBB0_4:
	s_or_b64 exec, exec, s[4:5]
	s_movk_i32 s12, 0xcd
	v_mul_lo_u16_sdwa v32, v28, s12 dst_sel:DWORD dst_unused:UNUSED_PAD src0_sel:BYTE_0 src1_sel:DWORD
	v_lshrrev_b16_e32 v46, 10, v32
	v_mul_lo_u16_e32 v32, 5, v46
	v_sub_u16_e32 v47, v28, v32
	v_mov_b32_e32 v32, 5
	v_lshlrev_b32_sdwa v40, v32, v47 dst_sel:DWORD dst_unused:UNUSED_PAD src0_sel:DWORD src1_sel:BYTE_0
	global_load_dwordx4 v[32:35], v40, s[8:9]
	global_load_dwordx4 v[36:39], v40, s[8:9] offset:16
	s_mov_b32 s4, 0xe8584caa
	s_mov_b32 s5, 0xbfebb67a
	;; [unrolled: 1-line block ×4, first 2 shown]
	s_movk_i32 s10, 0xf0
	s_waitcnt vmcnt(0) lgkmcnt(0)
	s_barrier
	v_mul_f64 v[40:41], v[18:19], v[34:35]
	v_mul_f64 v[42:43], v[22:23], v[38:39]
	;; [unrolled: 1-line block ×4, first 2 shown]
	v_fma_f64 v[40:41], v[16:17], v[32:33], v[40:41]
	v_fma_f64 v[20:21], v[20:21], v[36:37], v[42:43]
	v_fma_f64 v[17:18], v[18:19], v[32:33], -v[34:35]
	v_fma_f64 v[22:23], v[22:23], v[36:37], -v[38:39]
	v_mov_b32_e32 v16, 4
	v_add_f64 v[36:37], v[12:13], v[40:41]
	v_add_f64 v[32:33], v[40:41], v[20:21]
	v_add_f64 v[42:43], v[14:15], v[17:18]
	v_add_f64 v[34:35], v[17:18], v[22:23]
	v_add_f64 v[38:39], v[17:18], -v[22:23]
	v_add_f64 v[40:41], v[40:41], -v[20:21]
	v_add_f64 v[17:18], v[36:37], v[20:21]
	v_fma_f64 v[44:45], v[32:33], -0.5, v[12:13]
	v_add_f64 v[19:20], v[42:43], v[22:23]
	v_fma_f64 v[13:14], v[34:35], -0.5, v[14:15]
	v_lshlrev_b32_e32 v12, 4, v31
	v_mad_u32_u24 v15, v46, s10, 0
	v_fma_f64 v[31:32], v[38:39], s[4:5], v[44:45]
	v_fma_f64 v[35:36], v[38:39], s[6:7], v[44:45]
	;; [unrolled: 1-line block ×4, first 2 shown]
	v_lshlrev_b32_sdwa v13, v16, v47 dst_sel:DWORD dst_unused:UNUSED_PAD src0_sel:DWORD src1_sel:BYTE_0
	v_add3_u32 v13, v15, v13, v12
	ds_write_b128 v13, v[17:20]
	ds_write_b128 v13, v[31:34] offset:80
	ds_write_b128 v13, v[35:38] offset:160
	s_and_saveexec_b64 s[10:11], s[0:1]
	s_cbranch_execz .LBB0_6
; %bb.5:
	v_add_u16_e32 v13, 15, v28
	v_mul_lo_u16_sdwa v14, v13, s12 dst_sel:DWORD dst_unused:UNUSED_PAD src0_sel:BYTE_0 src1_sel:DWORD
	v_lshrrev_b16_e32 v15, 10, v14
	v_mul_lo_u16_e32 v14, 5, v15
	v_sub_u16_e32 v13, v13, v14
	v_and_b32_e32 v23, 0xff, v13
	v_lshlrev_b32_e32 v13, 5, v23
	global_load_dwordx4 v[17:20], v13, s[8:9]
	global_load_dwordx4 v[31:34], v13, s[8:9] offset:16
	s_waitcnt vmcnt(1)
	v_mul_f64 v[13:14], v[4:5], v[19:20]
	s_waitcnt vmcnt(0)
	v_mul_f64 v[21:22], v[8:9], v[33:34]
	v_mul_f64 v[19:20], v[6:7], v[19:20]
	;; [unrolled: 1-line block ×3, first 2 shown]
	v_fma_f64 v[6:7], v[6:7], v[17:18], -v[13:14]
	v_fma_f64 v[10:11], v[10:11], v[31:32], -v[21:22]
	v_fma_f64 v[4:5], v[4:5], v[17:18], v[19:20]
	v_fma_f64 v[8:9], v[8:9], v[31:32], v[33:34]
	v_add_f64 v[21:22], v[2:3], v[6:7]
	v_add_f64 v[13:14], v[6:7], v[10:11]
	v_add_f64 v[31:32], v[6:7], -v[10:11]
	v_add_f64 v[17:18], v[4:5], v[8:9]
	v_add_f64 v[19:20], v[4:5], -v[8:9]
	v_add_f64 v[4:5], v[0:1], v[4:5]
	v_fma_f64 v[13:14], v[13:14], -0.5, v[2:3]
	v_add_f64 v[2:3], v[21:22], v[10:11]
	v_fma_f64 v[17:18], v[17:18], -0.5, v[0:1]
	v_add_f64 v[0:1], v[4:5], v[8:9]
	v_fma_f64 v[10:11], v[19:20], s[6:7], v[13:14]
	v_fma_f64 v[6:7], v[19:20], s[4:5], v[13:14]
	;; [unrolled: 1-line block ×4, first 2 shown]
	v_mul_lo_u16_e32 v13, 15, v15
	v_lshlrev_b32_sdwa v13, v16, v13 dst_sel:DWORD dst_unused:UNUSED_PAD src0_sel:DWORD src1_sel:BYTE_0
	v_lshl_add_u32 v14, v23, 4, 0
	v_add3_u32 v12, v14, v13, v12
	ds_write_b128 v12, v[0:3]
	ds_write_b128 v12, v[8:11] offset:80
	ds_write_b128 v12, v[4:7] offset:160
.LBB0_6:
	s_or_b64 exec, exec, s[10:11]
	s_waitcnt lgkmcnt(0)
	s_barrier
	s_and_saveexec_b64 s[0:1], vcc
	s_cbranch_execz .LBB0_8
; %bb.7:
	global_load_dwordx4 v[0:3], v30, s[8:9] offset:176
	global_load_dwordx4 v[4:7], v30, s[8:9] offset:160
	;; [unrolled: 1-line block ×4, first 2 shown]
	ds_read_b128 v[16:19], v29 offset:480
	ds_read_b128 v[20:23], v29 offset:720
	;; [unrolled: 1-line block ×4, first 2 shown]
	ds_read_b128 v[38:41], v27
	v_lshlrev_b32_e32 v52, 4, v26
	v_mov_b32_e32 v46, s3
	v_add_co_u32_e32 v53, vcc, s2, v24
	v_addc_co_u32_e32 v54, vcc, v46, v25, vcc
	s_mov_b32 s4, 0x134454ff
	s_mov_b32 s5, 0x3fee6f0e
	;; [unrolled: 1-line block ×10, first 2 shown]
	s_waitcnt vmcnt(3) lgkmcnt(4)
	v_mul_f64 v[26:27], v[2:3], v[16:17]
	s_waitcnt vmcnt(2) lgkmcnt(1)
	v_mul_f64 v[28:29], v[6:7], v[34:35]
	s_waitcnt vmcnt(1)
	v_mul_f64 v[42:43], v[10:11], v[20:21]
	s_waitcnt vmcnt(0)
	v_mul_f64 v[44:45], v[14:15], v[30:31]
	v_mul_f64 v[16:17], v[0:1], v[16:17]
	;; [unrolled: 1-line block ×5, first 2 shown]
	v_fma_f64 v[0:1], v[0:1], v[18:19], -v[26:27]
	v_fma_f64 v[4:5], v[4:5], v[36:37], -v[28:29]
	;; [unrolled: 1-line block ×4, first 2 shown]
	v_fma_f64 v[2:3], v[18:19], v[2:3], v[16:17]
	v_fma_f64 v[10:11], v[22:23], v[10:11], v[20:21]
	;; [unrolled: 1-line block ×4, first 2 shown]
	v_add_f64 v[16:17], v[0:1], -v[4:5]
	v_add_f64 v[26:27], v[4:5], -v[0:1]
	;; [unrolled: 1-line block ×3, first 2 shown]
	v_add_f64 v[22:23], v[4:5], v[12:13]
	v_add_f64 v[28:29], v[12:13], -v[8:9]
	v_add_f64 v[30:31], v[0:1], v[8:9]
	v_add_f64 v[34:35], v[2:3], -v[6:7]
	v_add_f64 v[36:37], v[10:11], -v[14:15]
	v_add_f64 v[50:51], v[2:3], v[10:11]
	s_waitcnt lgkmcnt(0)
	v_add_f64 v[32:33], v[4:5], v[40:41]
	v_add_f64 v[42:43], v[6:7], v[14:15]
	v_add_f64 v[24:25], v[6:7], -v[14:15]
	v_add_f64 v[46:47], v[6:7], -v[2:3]
	v_add_f64 v[6:7], v[6:7], v[38:39]
	v_add_f64 v[20:21], v[2:3], -v[10:11]
	v_add_f64 v[4:5], v[4:5], -v[12:13]
	v_add_f64 v[16:17], v[16:17], v[18:19]
	v_fma_f64 v[18:19], v[22:23], -0.5, v[40:41]
	v_add_f64 v[22:23], v[26:27], v[28:29]
	v_fma_f64 v[26:27], v[30:31], -0.5, v[40:41]
	;; [unrolled: 2-line block ×3, first 2 shown]
	v_add_f64 v[44:45], v[0:1], -v[8:9]
	v_add_f64 v[0:1], v[0:1], v[32:33]
	v_fma_f64 v[30:31], v[42:43], -0.5, v[38:39]
	v_add_f64 v[2:3], v[2:3], v[6:7]
	v_add_f64 v[48:49], v[14:15], -v[10:11]
	v_fma_f64 v[6:7], v[20:21], s[4:5], v[18:19]
	v_fma_f64 v[18:19], v[20:21], s[10:11], v[18:19]
	;; [unrolled: 1-line block ×6, first 2 shown]
	v_add_f64 v[0:1], v[8:9], v[0:1]
	v_fma_f64 v[8:9], v[44:45], s[10:11], v[30:31]
	v_fma_f64 v[30:31], v[44:45], s[4:5], v[30:31]
	v_add_f64 v[10:11], v[10:11], v[2:3]
	v_add_f64 v[32:33], v[46:47], v[48:49]
	v_fma_f64 v[6:7], v[24:25], s[6:7], v[6:7]
	v_fma_f64 v[18:19], v[24:25], s[8:9], v[18:19]
	;; [unrolled: 1-line block ×5, first 2 shown]
	v_add_f64 v[2:3], v[12:13], v[0:1]
	v_fma_f64 v[8:9], v[4:5], s[8:9], v[8:9]
	v_fma_f64 v[12:13], v[4:5], s[6:7], v[30:31]
	;; [unrolled: 1-line block ×3, first 2 shown]
	v_add_f64 v[0:1], v[14:15], v[10:11]
	v_fma_f64 v[6:7], v[16:17], s[0:1], v[6:7]
	v_fma_f64 v[10:11], v[16:17], s[0:1], v[18:19]
	;; [unrolled: 1-line block ×8, first 2 shown]
	v_add_co_u32_e32 v20, vcc, v53, v52
	v_addc_co_u32_e32 v21, vcc, 0, v54, vcc
	global_store_dwordx4 v[20:21], v[0:3], off
	global_store_dwordx4 v[20:21], v[16:19], off offset:240
	global_store_dwordx4 v[20:21], v[8:11], off offset:480
	;; [unrolled: 1-line block ×4, first 2 shown]
.LBB0_8:
	s_endpgm
	.section	.rodata,"a",@progbits
	.p2align	6, 0x0
	.amdhsa_kernel fft_rtc_back_len75_factors_5_3_5_wgs_195_tpt_15_dim1_dp_ip_CI_unitstride_sbrr_dirReg
		.amdhsa_group_segment_fixed_size 0
		.amdhsa_private_segment_fixed_size 0
		.amdhsa_kernarg_size 80
		.amdhsa_user_sgpr_count 6
		.amdhsa_user_sgpr_private_segment_buffer 1
		.amdhsa_user_sgpr_dispatch_ptr 0
		.amdhsa_user_sgpr_queue_ptr 0
		.amdhsa_user_sgpr_kernarg_segment_ptr 1
		.amdhsa_user_sgpr_dispatch_id 0
		.amdhsa_user_sgpr_flat_scratch_init 0
		.amdhsa_user_sgpr_private_segment_size 0
		.amdhsa_uses_dynamic_stack 0
		.amdhsa_system_sgpr_private_segment_wavefront_offset 0
		.amdhsa_system_sgpr_workgroup_id_x 1
		.amdhsa_system_sgpr_workgroup_id_y 0
		.amdhsa_system_sgpr_workgroup_id_z 0
		.amdhsa_system_sgpr_workgroup_info 0
		.amdhsa_system_vgpr_workitem_id 0
		.amdhsa_next_free_vgpr 55
		.amdhsa_next_free_sgpr 16
		.amdhsa_reserve_vcc 1
		.amdhsa_reserve_flat_scratch 0
		.amdhsa_float_round_mode_32 0
		.amdhsa_float_round_mode_16_64 0
		.amdhsa_float_denorm_mode_32 3
		.amdhsa_float_denorm_mode_16_64 3
		.amdhsa_dx10_clamp 1
		.amdhsa_ieee_mode 1
		.amdhsa_fp16_overflow 0
		.amdhsa_exception_fp_ieee_invalid_op 0
		.amdhsa_exception_fp_denorm_src 0
		.amdhsa_exception_fp_ieee_div_zero 0
		.amdhsa_exception_fp_ieee_overflow 0
		.amdhsa_exception_fp_ieee_underflow 0
		.amdhsa_exception_fp_ieee_inexact 0
		.amdhsa_exception_int_div_zero 0
	.end_amdhsa_kernel
	.text
.Lfunc_end0:
	.size	fft_rtc_back_len75_factors_5_3_5_wgs_195_tpt_15_dim1_dp_ip_CI_unitstride_sbrr_dirReg, .Lfunc_end0-fft_rtc_back_len75_factors_5_3_5_wgs_195_tpt_15_dim1_dp_ip_CI_unitstride_sbrr_dirReg
                                        ; -- End function
	.section	.AMDGPU.csdata,"",@progbits
; Kernel info:
; codeLenInByte = 2384
; NumSgprs: 20
; NumVgprs: 55
; ScratchSize: 0
; MemoryBound: 1
; FloatMode: 240
; IeeeMode: 1
; LDSByteSize: 0 bytes/workgroup (compile time only)
; SGPRBlocks: 2
; VGPRBlocks: 13
; NumSGPRsForWavesPerEU: 20
; NumVGPRsForWavesPerEU: 55
; Occupancy: 4
; WaveLimiterHint : 1
; COMPUTE_PGM_RSRC2:SCRATCH_EN: 0
; COMPUTE_PGM_RSRC2:USER_SGPR: 6
; COMPUTE_PGM_RSRC2:TRAP_HANDLER: 0
; COMPUTE_PGM_RSRC2:TGID_X_EN: 1
; COMPUTE_PGM_RSRC2:TGID_Y_EN: 0
; COMPUTE_PGM_RSRC2:TGID_Z_EN: 0
; COMPUTE_PGM_RSRC2:TIDIG_COMP_CNT: 0
	.type	__hip_cuid_723b49311ac1b347,@object ; @__hip_cuid_723b49311ac1b347
	.section	.bss,"aw",@nobits
	.globl	__hip_cuid_723b49311ac1b347
__hip_cuid_723b49311ac1b347:
	.byte	0                               ; 0x0
	.size	__hip_cuid_723b49311ac1b347, 1

	.ident	"AMD clang version 19.0.0git (https://github.com/RadeonOpenCompute/llvm-project roc-6.4.0 25133 c7fe45cf4b819c5991fe208aaa96edf142730f1d)"
	.section	".note.GNU-stack","",@progbits
	.addrsig
	.addrsig_sym __hip_cuid_723b49311ac1b347
	.amdgpu_metadata
---
amdhsa.kernels:
  - .args:
      - .actual_access:  read_only
        .address_space:  global
        .offset:         0
        .size:           8
        .value_kind:     global_buffer
      - .actual_access:  read_only
        .address_space:  global
        .offset:         8
        .size:           8
        .value_kind:     global_buffer
      - .actual_access:  read_only
        .address_space:  global
        .offset:         16
        .size:           8
        .value_kind:     global_buffer
      - .offset:         24
        .size:           8
        .value_kind:     by_value
      - .actual_access:  read_only
        .address_space:  global
        .offset:         32
        .size:           8
        .value_kind:     global_buffer
      - .actual_access:  read_only
        .address_space:  global
        .offset:         40
        .size:           8
        .value_kind:     global_buffer
      - .offset:         48
        .size:           4
        .value_kind:     by_value
      - .actual_access:  read_only
        .address_space:  global
        .offset:         56
        .size:           8
        .value_kind:     global_buffer
      - .actual_access:  read_only
        .address_space:  global
        .offset:         64
        .size:           8
        .value_kind:     global_buffer
      - .address_space:  global
        .offset:         72
        .size:           8
        .value_kind:     global_buffer
    .group_segment_fixed_size: 0
    .kernarg_segment_align: 8
    .kernarg_segment_size: 80
    .language:       OpenCL C
    .language_version:
      - 2
      - 0
    .max_flat_workgroup_size: 195
    .name:           fft_rtc_back_len75_factors_5_3_5_wgs_195_tpt_15_dim1_dp_ip_CI_unitstride_sbrr_dirReg
    .private_segment_fixed_size: 0
    .sgpr_count:     20
    .sgpr_spill_count: 0
    .symbol:         fft_rtc_back_len75_factors_5_3_5_wgs_195_tpt_15_dim1_dp_ip_CI_unitstride_sbrr_dirReg.kd
    .uniform_work_group_size: 1
    .uses_dynamic_stack: false
    .vgpr_count:     55
    .vgpr_spill_count: 0
    .wavefront_size: 64
amdhsa.target:   amdgcn-amd-amdhsa--gfx906
amdhsa.version:
  - 1
  - 2
...

	.end_amdgpu_metadata
